;; amdgpu-corpus repo=ROCm/rocFFT kind=compiled arch=gfx1030 opt=O3
	.text
	.amdgcn_target "amdgcn-amd-amdhsa--gfx1030"
	.amdhsa_code_object_version 6
	.protected	fft_rtc_back_len924_factors_2_2_3_7_11_wgs_44_tpt_44_halfLds_sp_op_CI_CI_unitstride_sbrr_dirReg ; -- Begin function fft_rtc_back_len924_factors_2_2_3_7_11_wgs_44_tpt_44_halfLds_sp_op_CI_CI_unitstride_sbrr_dirReg
	.globl	fft_rtc_back_len924_factors_2_2_3_7_11_wgs_44_tpt_44_halfLds_sp_op_CI_CI_unitstride_sbrr_dirReg
	.p2align	8
	.type	fft_rtc_back_len924_factors_2_2_3_7_11_wgs_44_tpt_44_halfLds_sp_op_CI_CI_unitstride_sbrr_dirReg,@function
fft_rtc_back_len924_factors_2_2_3_7_11_wgs_44_tpt_44_halfLds_sp_op_CI_CI_unitstride_sbrr_dirReg: ; @fft_rtc_back_len924_factors_2_2_3_7_11_wgs_44_tpt_44_halfLds_sp_op_CI_CI_unitstride_sbrr_dirReg
; %bb.0:
	s_clause 0x2
	s_load_dwordx4 s[8:11], s[4:5], 0x0
	s_load_dwordx4 s[12:15], s[4:5], 0x58
	;; [unrolled: 1-line block ×3, first 2 shown]
	v_mul_u32_u24_e32 v1, 0x5d2, v0
	v_mov_b32_e32 v3, 0
	v_add_nc_u32_sdwa v5, s6, v1 dst_sel:DWORD dst_unused:UNUSED_PAD src0_sel:DWORD src1_sel:WORD_1
	v_mov_b32_e32 v1, 0
	v_mov_b32_e32 v6, v3
	v_mov_b32_e32 v2, 0
	s_waitcnt lgkmcnt(0)
	v_cmp_lt_u64_e64 s0, s[10:11], 2
	s_and_b32 vcc_lo, exec_lo, s0
	s_cbranch_vccnz .LBB0_8
; %bb.1:
	s_load_dwordx2 s[0:1], s[4:5], 0x10
	v_mov_b32_e32 v1, 0
	v_mov_b32_e32 v2, 0
	s_add_u32 s2, s18, 8
	s_addc_u32 s3, s19, 0
	s_add_u32 s6, s16, 8
	s_addc_u32 s7, s17, 0
	v_mov_b32_e32 v21, v2
	v_mov_b32_e32 v20, v1
	s_mov_b64 s[22:23], 1
	s_waitcnt lgkmcnt(0)
	s_add_u32 s20, s0, 8
	s_addc_u32 s21, s1, 0
.LBB0_2:                                ; =>This Inner Loop Header: Depth=1
	s_load_dwordx2 s[24:25], s[20:21], 0x0
                                        ; implicit-def: $vgpr22_vgpr23
	s_mov_b32 s0, exec_lo
	s_waitcnt lgkmcnt(0)
	v_or_b32_e32 v4, s25, v6
	v_cmpx_ne_u64_e32 0, v[3:4]
	s_xor_b32 s1, exec_lo, s0
	s_cbranch_execz .LBB0_4
; %bb.3:                                ;   in Loop: Header=BB0_2 Depth=1
	v_cvt_f32_u32_e32 v4, s24
	v_cvt_f32_u32_e32 v7, s25
	s_sub_u32 s0, 0, s24
	s_subb_u32 s26, 0, s25
	v_fmac_f32_e32 v4, 0x4f800000, v7
	v_rcp_f32_e32 v4, v4
	v_mul_f32_e32 v4, 0x5f7ffffc, v4
	v_mul_f32_e32 v7, 0x2f800000, v4
	v_trunc_f32_e32 v7, v7
	v_fmac_f32_e32 v4, 0xcf800000, v7
	v_cvt_u32_f32_e32 v7, v7
	v_cvt_u32_f32_e32 v4, v4
	v_mul_lo_u32 v8, s0, v7
	v_mul_hi_u32 v9, s0, v4
	v_mul_lo_u32 v10, s26, v4
	v_add_nc_u32_e32 v8, v9, v8
	v_mul_lo_u32 v9, s0, v4
	v_add_nc_u32_e32 v8, v8, v10
	v_mul_hi_u32 v10, v4, v9
	v_mul_lo_u32 v11, v4, v8
	v_mul_hi_u32 v12, v4, v8
	v_mul_hi_u32 v13, v7, v9
	v_mul_lo_u32 v9, v7, v9
	v_mul_hi_u32 v14, v7, v8
	v_mul_lo_u32 v8, v7, v8
	v_add_co_u32 v10, vcc_lo, v10, v11
	v_add_co_ci_u32_e32 v11, vcc_lo, 0, v12, vcc_lo
	v_add_co_u32 v9, vcc_lo, v10, v9
	v_add_co_ci_u32_e32 v9, vcc_lo, v11, v13, vcc_lo
	v_add_co_ci_u32_e32 v10, vcc_lo, 0, v14, vcc_lo
	v_add_co_u32 v8, vcc_lo, v9, v8
	v_add_co_ci_u32_e32 v9, vcc_lo, 0, v10, vcc_lo
	v_add_co_u32 v4, vcc_lo, v4, v8
	v_add_co_ci_u32_e32 v7, vcc_lo, v7, v9, vcc_lo
	v_mul_hi_u32 v8, s0, v4
	v_mul_lo_u32 v10, s26, v4
	v_mul_lo_u32 v9, s0, v7
	v_add_nc_u32_e32 v8, v8, v9
	v_mul_lo_u32 v9, s0, v4
	v_add_nc_u32_e32 v8, v8, v10
	v_mul_hi_u32 v10, v4, v9
	v_mul_lo_u32 v11, v4, v8
	v_mul_hi_u32 v12, v4, v8
	v_mul_hi_u32 v13, v7, v9
	v_mul_lo_u32 v9, v7, v9
	v_mul_hi_u32 v14, v7, v8
	v_mul_lo_u32 v8, v7, v8
	v_add_co_u32 v10, vcc_lo, v10, v11
	v_add_co_ci_u32_e32 v11, vcc_lo, 0, v12, vcc_lo
	v_add_co_u32 v9, vcc_lo, v10, v9
	v_add_co_ci_u32_e32 v9, vcc_lo, v11, v13, vcc_lo
	v_add_co_ci_u32_e32 v10, vcc_lo, 0, v14, vcc_lo
	v_add_co_u32 v8, vcc_lo, v9, v8
	v_add_co_ci_u32_e32 v9, vcc_lo, 0, v10, vcc_lo
	v_add_co_u32 v4, vcc_lo, v4, v8
	v_add_co_ci_u32_e32 v11, vcc_lo, v7, v9, vcc_lo
	v_mul_hi_u32 v13, v5, v4
	v_mad_u64_u32 v[9:10], null, v6, v4, 0
	v_mad_u64_u32 v[7:8], null, v5, v11, 0
	;; [unrolled: 1-line block ×3, first 2 shown]
	v_add_co_u32 v4, vcc_lo, v13, v7
	v_add_co_ci_u32_e32 v7, vcc_lo, 0, v8, vcc_lo
	v_add_co_u32 v4, vcc_lo, v4, v9
	v_add_co_ci_u32_e32 v4, vcc_lo, v7, v10, vcc_lo
	v_add_co_ci_u32_e32 v7, vcc_lo, 0, v12, vcc_lo
	v_add_co_u32 v4, vcc_lo, v4, v11
	v_add_co_ci_u32_e32 v9, vcc_lo, 0, v7, vcc_lo
	v_mul_lo_u32 v10, s25, v4
	v_mad_u64_u32 v[7:8], null, s24, v4, 0
	v_mul_lo_u32 v11, s24, v9
	v_sub_co_u32 v7, vcc_lo, v5, v7
	v_add3_u32 v8, v8, v11, v10
	v_sub_nc_u32_e32 v10, v6, v8
	v_subrev_co_ci_u32_e64 v10, s0, s25, v10, vcc_lo
	v_add_co_u32 v11, s0, v4, 2
	v_add_co_ci_u32_e64 v12, s0, 0, v9, s0
	v_sub_co_u32 v13, s0, v7, s24
	v_sub_co_ci_u32_e32 v8, vcc_lo, v6, v8, vcc_lo
	v_subrev_co_ci_u32_e64 v10, s0, 0, v10, s0
	v_cmp_le_u32_e32 vcc_lo, s24, v13
	v_cmp_eq_u32_e64 s0, s25, v8
	v_cndmask_b32_e64 v13, 0, -1, vcc_lo
	v_cmp_le_u32_e32 vcc_lo, s25, v10
	v_cndmask_b32_e64 v14, 0, -1, vcc_lo
	v_cmp_le_u32_e32 vcc_lo, s24, v7
	;; [unrolled: 2-line block ×3, first 2 shown]
	v_cndmask_b32_e64 v15, 0, -1, vcc_lo
	v_cmp_eq_u32_e32 vcc_lo, s25, v10
	v_cndmask_b32_e64 v7, v15, v7, s0
	v_cndmask_b32_e32 v10, v14, v13, vcc_lo
	v_add_co_u32 v13, vcc_lo, v4, 1
	v_add_co_ci_u32_e32 v14, vcc_lo, 0, v9, vcc_lo
	v_cmp_ne_u32_e32 vcc_lo, 0, v10
	v_cndmask_b32_e32 v8, v14, v12, vcc_lo
	v_cndmask_b32_e32 v10, v13, v11, vcc_lo
	v_cmp_ne_u32_e32 vcc_lo, 0, v7
	v_cndmask_b32_e32 v23, v9, v8, vcc_lo
	v_cndmask_b32_e32 v22, v4, v10, vcc_lo
.LBB0_4:                                ;   in Loop: Header=BB0_2 Depth=1
	s_andn2_saveexec_b32 s0, s1
	s_cbranch_execz .LBB0_6
; %bb.5:                                ;   in Loop: Header=BB0_2 Depth=1
	v_cvt_f32_u32_e32 v4, s24
	s_sub_i32 s1, 0, s24
	v_mov_b32_e32 v23, v3
	v_rcp_iflag_f32_e32 v4, v4
	v_mul_f32_e32 v4, 0x4f7ffffe, v4
	v_cvt_u32_f32_e32 v4, v4
	v_mul_lo_u32 v7, s1, v4
	v_mul_hi_u32 v7, v4, v7
	v_add_nc_u32_e32 v4, v4, v7
	v_mul_hi_u32 v4, v5, v4
	v_mul_lo_u32 v7, v4, s24
	v_add_nc_u32_e32 v8, 1, v4
	v_sub_nc_u32_e32 v7, v5, v7
	v_subrev_nc_u32_e32 v9, s24, v7
	v_cmp_le_u32_e32 vcc_lo, s24, v7
	v_cndmask_b32_e32 v7, v7, v9, vcc_lo
	v_cndmask_b32_e32 v4, v4, v8, vcc_lo
	v_cmp_le_u32_e32 vcc_lo, s24, v7
	v_add_nc_u32_e32 v8, 1, v4
	v_cndmask_b32_e32 v22, v4, v8, vcc_lo
.LBB0_6:                                ;   in Loop: Header=BB0_2 Depth=1
	s_or_b32 exec_lo, exec_lo, s0
	v_mul_lo_u32 v4, v23, s24
	v_mul_lo_u32 v9, v22, s25
	s_load_dwordx2 s[0:1], s[6:7], 0x0
	v_mad_u64_u32 v[7:8], null, v22, s24, 0
	s_load_dwordx2 s[24:25], s[2:3], 0x0
	s_add_u32 s22, s22, 1
	s_addc_u32 s23, s23, 0
	s_add_u32 s2, s2, 8
	s_addc_u32 s3, s3, 0
	s_add_u32 s6, s6, 8
	v_add3_u32 v4, v8, v9, v4
	v_sub_co_u32 v5, vcc_lo, v5, v7
	s_addc_u32 s7, s7, 0
	s_add_u32 s20, s20, 8
	v_sub_co_ci_u32_e32 v4, vcc_lo, v6, v4, vcc_lo
	s_addc_u32 s21, s21, 0
	s_waitcnt lgkmcnt(0)
	v_mul_lo_u32 v6, s0, v4
	v_mul_lo_u32 v7, s1, v5
	v_mad_u64_u32 v[1:2], null, s0, v5, v[1:2]
	v_mul_lo_u32 v4, s24, v4
	v_mul_lo_u32 v8, s25, v5
	v_mad_u64_u32 v[20:21], null, s24, v5, v[20:21]
	v_cmp_ge_u64_e64 s0, s[22:23], s[10:11]
	v_add3_u32 v2, v7, v2, v6
	v_add3_u32 v21, v8, v21, v4
	s_and_b32 vcc_lo, exec_lo, s0
	s_cbranch_vccnz .LBB0_9
; %bb.7:                                ;   in Loop: Header=BB0_2 Depth=1
	v_mov_b32_e32 v5, v22
	v_mov_b32_e32 v6, v23
	s_branch .LBB0_2
.LBB0_8:
	v_mov_b32_e32 v21, v2
	v_mov_b32_e32 v23, v6
	;; [unrolled: 1-line block ×4, first 2 shown]
.LBB0_9:
	s_load_dwordx2 s[0:1], s[4:5], 0x28
	v_mul_hi_u32 v5, 0x5d1745e, v0
	s_lshl_b64 s[4:5], s[10:11], 3
                                        ; implicit-def: $sgpr6
                                        ; implicit-def: $vgpr72
	s_add_u32 s2, s18, s4
	s_addc_u32 s3, s19, s5
	s_waitcnt lgkmcnt(0)
	v_cmp_gt_u64_e32 vcc_lo, s[0:1], v[22:23]
	v_cmp_le_u64_e64 s0, s[0:1], v[22:23]
	s_and_saveexec_b32 s1, s0
	s_xor_b32 s0, exec_lo, s1
; %bb.10:
	v_mul_u32_u24_e32 v1, 44, v5
	s_mov_b32 s6, 0
                                        ; implicit-def: $vgpr5
	v_sub_nc_u32_e32 v72, v0, v1
                                        ; implicit-def: $vgpr0
                                        ; implicit-def: $vgpr1_vgpr2
; %bb.11:
	s_or_saveexec_b32 s1, s0
	s_load_dwordx2 s[2:3], s[2:3], 0x0
	v_mov_b32_e32 v4, s6
	v_mov_b32_e32 v3, s6
                                        ; implicit-def: $vgpr6
                                        ; implicit-def: $vgpr45
                                        ; implicit-def: $vgpr8
                                        ; implicit-def: $vgpr29
                                        ; implicit-def: $vgpr10
                                        ; implicit-def: $vgpr31
                                        ; implicit-def: $vgpr12
                                        ; implicit-def: $vgpr33
                                        ; implicit-def: $vgpr18
                                        ; implicit-def: $vgpr37
                                        ; implicit-def: $vgpr25
                                        ; implicit-def: $vgpr39
                                        ; implicit-def: $vgpr14
                                        ; implicit-def: $vgpr41
                                        ; implicit-def: $vgpr16
                                        ; implicit-def: $vgpr43
                                        ; implicit-def: $vgpr27
                                        ; implicit-def: $vgpr35
                                        ; implicit-def: $vgpr51
                                        ; implicit-def: $vgpr47
                                        ; implicit-def: $vgpr49
	s_xor_b32 exec_lo, exec_lo, s1
	s_cbranch_execz .LBB0_15
; %bb.12:
	s_add_u32 s4, s16, s4
	s_addc_u32 s5, s17, s5
	v_mul_u32_u24_e32 v5, 44, v5
	s_load_dwordx2 s[4:5], s[4:5], 0x0
	v_lshlrev_b64 v[1:2], 3, v[1:2]
                                        ; implicit-def: $vgpr50
	v_sub_nc_u32_e32 v72, v0, v5
	s_waitcnt lgkmcnt(0)
	v_mul_lo_u32 v6, s5, v22
	v_mul_lo_u32 v7, s4, v23
	v_mad_u64_u32 v[3:4], null, s4, v22, 0
	s_mov_b32 s4, exec_lo
	v_add3_u32 v4, v4, v7, v6
	v_lshlrev_b64 v[3:4], 3, v[3:4]
	v_add_co_u32 v0, s0, s12, v3
	v_add_co_ci_u32_e64 v3, s0, s13, v4, s0
	v_lshlrev_b32_e32 v4, 3, v72
	v_add_co_u32 v0, s0, v0, v1
	v_add_co_ci_u32_e64 v1, s0, v3, v2, s0
	v_add_co_u32 v2, s0, v0, v4
	v_add_co_ci_u32_e64 v3, s0, 0, v1, s0
	v_mov_b32_e32 v4, 0
	v_add_co_u32 v0, s0, 0x800, v2
	v_add_co_ci_u32_e64 v1, s0, 0, v3, s0
	v_add_co_u32 v40, s0, 0x1000, v2
	v_add_co_ci_u32_e64 v41, s0, 0, v3, s0
	v_add_co_u32 v51, s0, 0x1800, v2
	s_clause 0x3
	global_load_dwordx2 v[5:6], v[2:3], off
	global_load_dwordx2 v[7:8], v[2:3], off offset:352
	global_load_dwordx2 v[9:10], v[2:3], off offset:704
	;; [unrolled: 1-line block ×3, first 2 shown]
	v_add_co_ci_u32_e64 v52, s0, 0, v3, s0
	s_clause 0xf
	global_load_dwordx2 v[28:29], v[0:1], off offset:2000
	global_load_dwordx2 v[30:31], v[40:41], off offset:304
	;; [unrolled: 1-line block ×16, first 2 shown]
	v_mov_b32_e32 v3, 0
	v_cmpx_gt_u32_e32 22, v72
; %bb.13:
	s_clause 0x1
	global_load_dwordx2 v[3:4], v[0:1], off offset:1472
	global_load_dwordx2 v[50:51], v[51:52], off offset:1072
; %bb.14:
	s_or_b32 exec_lo, exec_lo, s4
.LBB0_15:
	s_or_b32 exec_lo, exec_lo, s1
	s_waitcnt vmcnt(5)
	v_sub_f32_e32 v1, v5, v44
	v_sub_f32_e32 v55, v9, v30
	;; [unrolled: 1-line block ×3, first 2 shown]
	v_add_nc_u32_e32 v74, 44, v72
	v_add_nc_u32_e32 v76, 0x58, v72
	v_fma_f32 v0, v5, 2.0, -v1
	v_fma_f32 v54, v9, 2.0, -v55
	v_lshl_add_u32 v9, v72, 3, 0
	v_fma_f32 v52, v7, 2.0, -v53
	v_lshl_add_u32 v7, v74, 3, 0
	v_sub_f32_e32 v57, v11, v32
	v_add_nc_u32_e32 v77, 0x84, v72
	ds_write_b64 v9, v[0:1]
	v_sub_f32_e32 v1, v17, v36
	v_add_nc_u32_e32 v78, 0xb0, v72
	v_lshl_add_u32 v5, v76, 3, 0
	ds_write_b64 v7, v[52:53]
	v_sub_f32_e32 v53, v24, v38
	v_add_nc_u32_e32 v79, 0xdc, v72
	v_fma_f32 v56, v11, 2.0, -v57
	v_lshl_add_u32 v28, v77, 3, 0
	v_fma_f32 v0, v17, 2.0, -v1
	v_lshl_add_u32 v17, v78, 3, 0
	;; [unrolled: 2-line block ×3, first 2 shown]
	ds_write_b64 v5, v[54:55]
	ds_write_b64 v28, v[56:57]
	;; [unrolled: 1-line block ×3, first 2 shown]
	s_waitcnt vmcnt(3)
	v_sub_f32_e32 v54, v13, v40
	v_add_nc_u32_e32 v80, 0x108, v72
	s_waitcnt vmcnt(2)
	v_sub_f32_e32 v56, v15, v42
	v_add_nc_u32_e32 v30, 0x134, v72
	;; [unrolled: 3-line block ×4, first 2 shown]
	v_sub_f32_e32 v1, v3, v50
	v_add_nc_u32_e32 v19, 0x1b8, v72
	ds_write_b64 v11, v[52:53]
	v_fma_f32 v53, v13, 2.0, -v54
	v_lshl_add_u32 v24, v80, 3, 0
	v_fma_f32 v55, v15, 2.0, -v56
	v_lshl_add_u32 v13, v30, 3, 0
	;; [unrolled: 2-line block ×4, first 2 shown]
	v_fma_f32 v0, v3, 2.0, -v1
	v_cmp_gt_u32_e64 s0, 22, v72
	v_lshl_add_u32 v15, v19, 3, 0
	ds_write_b64 v24, v[53:54]
	ds_write_b64 v13, v[55:56]
	;; [unrolled: 1-line block ×4, first 2 shown]
	s_and_saveexec_b32 s1, s0
	s_cbranch_execz .LBB0_17
; %bb.16:
	ds_write_b64 v15, v[0:1]
.LBB0_17:
	s_or_b32 exec_lo, exec_lo, s1
	v_lshl_add_u32 v75, v72, 2, 0
	s_waitcnt lgkmcnt(0)
	s_barrier
	buffer_gl0_inv
	ds_read2_b32 v[64:65], v75 offset1:44
	ds_read2_b32 v[62:63], v75 offset0:88 offset1:132
	v_add_nc_u32_e32 v2, 0x400, v75
	v_add_nc_u32_e32 v3, 0x800, v75
	;; [unrolled: 1-line block ×4, first 2 shown]
	ds_read2_b32 v[60:61], v2 offset0:206 offset1:250
	ds_read2_b32 v[56:57], v3 offset0:38 offset1:82
	;; [unrolled: 1-line block ×8, first 2 shown]
	s_and_saveexec_b32 s1, s0
	s_cbranch_execz .LBB0_19
; %bb.18:
	ds_read_b32 v0, v75 offset:1760
	ds_read_b32 v1, v75 offset:3608
.LBB0_19:
	s_or_b32 exec_lo, exec_lo, s1
	v_sub_f32_e32 v38, v6, v45
	v_sub_f32_e32 v3, v4, v51
	;; [unrolled: 1-line block ×6, first 2 shown]
	v_fma_f32 v37, v6, 2.0, -v38
	v_sub_f32_e32 v86, v25, v39
	v_sub_f32_e32 v42, v14, v41
	;; [unrolled: 1-line block ×5, first 2 shown]
	v_fma_f32 v2, v4, 2.0, -v3
	v_fma_f32 v39, v8, 2.0, -v40
	;; [unrolled: 1-line block ×10, first 2 shown]
	s_waitcnt lgkmcnt(0)
	s_barrier
	buffer_gl0_inv
	ds_write_b64 v9, v[37:38]
	ds_write_b64 v7, v[39:40]
	;; [unrolled: 1-line block ×10, first 2 shown]
	s_and_saveexec_b32 s1, s0
	s_cbranch_execz .LBB0_21
; %bb.20:
	ds_write_b64 v15, v[2:3]
.LBB0_21:
	s_or_b32 exec_lo, exec_lo, s1
	v_add_nc_u32_e32 v8, 0x800, v75
	v_add_nc_u32_e32 v10, 0x400, v75
	;; [unrolled: 1-line block ×4, first 2 shown]
	s_waitcnt lgkmcnt(0)
	s_barrier
	buffer_gl0_inv
	ds_read2_b32 v[4:5], v75 offset1:44
	ds_read2_b32 v[24:25], v10 offset0:206 offset1:250
	ds_read2_b32 v[6:7], v75 offset0:88 offset1:132
	;; [unrolled: 1-line block ×9, first 2 shown]
	v_lshlrev_b32_e32 v10, 1, v72
	v_lshlrev_b32_e32 v33, 1, v74
	;; [unrolled: 1-line block ×10, first 2 shown]
	s_and_saveexec_b32 s1, s0
	s_cbranch_execz .LBB0_23
; %bb.22:
	ds_read_b32 v2, v75 offset:1760
	ds_read_b32 v3, v75 offset:3608
.LBB0_23:
	s_or_b32 exec_lo, exec_lo, s1
	v_and_b32_e32 v36, 1, v72
	v_lshlrev_b32_e32 v19, 1, v19
	v_lshlrev_b32_e32 v30, 3, v36
	v_and_or_b32 v10, 0x7c, v10, v36
	v_and_or_b32 v42, 0x1fc, v37, v36
	v_and_or_b32 v43, 0x3fc, v38, v36
	v_and_or_b32 v44, 0x2fc, v39, v36
	global_load_dwordx2 v[30:31], v30, s[8:9]
	v_and_or_b32 v45, 0x2fc, v40, v36
	v_and_or_b32 v32, 0x3fc, v32, v36
	;; [unrolled: 1-line block ×5, first 2 shown]
	v_lshl_add_u32 v37, v10, 2, 0
	v_and_or_b32 v46, 0x3fc, v41, v36
	v_lshl_add_u32 v41, v42, 2, 0
	v_lshl_add_u32 v42, v43, 2, 0
	;; [unrolled: 1-line block ×9, first 2 shown]
	s_waitcnt vmcnt(0) lgkmcnt(0)
	s_barrier
	buffer_gl0_inv
	v_mul_f32_e32 v10, v24, v31
	v_mul_f32_e32 v32, v25, v31
	;; [unrolled: 1-line block ×11, first 2 shown]
	v_fmac_f32_e32 v10, v60, v30
	v_fmac_f32_e32 v32, v61, v30
	;; [unrolled: 1-line block ×11, first 2 shown]
	v_sub_f32_e32 v10, v64, v10
	v_sub_f32_e32 v32, v65, v32
	;; [unrolled: 1-line block ×11, first 2 shown]
	v_fma_f32 v64, v64, 2.0, -v10
	v_fma_f32 v65, v65, 2.0, -v32
	;; [unrolled: 1-line block ×10, first 2 shown]
	ds_write2_b32 v37, v64, v10 offset1:2
	ds_write2_b32 v38, v65, v32 offset1:2
	;; [unrolled: 1-line block ×10, first 2 shown]
	s_and_saveexec_b32 s1, s0
	s_cbranch_execz .LBB0_25
; %bb.24:
	v_and_or_b32 v10, 0x3fc, v19, v36
	v_fma_f32 v0, v0, 2.0, -v73
	v_lshl_add_u32 v10, v10, 2, 0
	ds_write2_b32 v10, v0, v73 offset1:2
.LBB0_25:
	s_or_b32 exec_lo, exec_lo, s1
	v_mul_f32_e32 v0, v60, v31
	v_mul_f32_e32 v10, v61, v31
	;; [unrolled: 1-line block ×5, first 2 shown]
	v_fma_f32 v0, v24, v30, -v0
	v_mul_f32_e32 v24, v59, v31
	v_fma_f32 v10, v25, v30, -v10
	v_fma_f32 v25, v26, v30, -v32
	;; [unrolled: 1-line block ×5, first 2 shown]
	v_mul_f32_e32 v28, v54, v31
	v_mul_f32_e32 v29, v55, v31
	v_mul_f32_e32 v1, v1, v31
	v_mul_f32_e32 v32, v52, v31
	v_mul_f32_e32 v33, v53, v31
	v_fma_f32 v8, v8, v30, -v28
	v_fma_f32 v9, v9, v30, -v29
	;; [unrolled: 1-line block ×3, first 2 shown]
	v_sub_f32_e32 v0, v4, v0
	v_sub_f32_e32 v3, v5, v10
	;; [unrolled: 1-line block ×5, first 2 shown]
	v_add_nc_u32_e32 v48, 0x400, v75
	v_add_nc_u32_e32 v52, 0x800, v75
	;; [unrolled: 1-line block ×3, first 2 shown]
	v_fma_f32 v17, v17, v30, -v32
	v_fma_f32 v18, v18, v30, -v33
	v_fma_f32 v54, v4, 2.0, -v0
	v_fma_f32 v55, v5, 2.0, -v3
	;; [unrolled: 1-line block ×5, first 2 shown]
	v_sub_f32_e32 v59, v12, v24
	v_sub_f32_e32 v60, v13, v8
	;; [unrolled: 1-line block ×3, first 2 shown]
	s_waitcnt lgkmcnt(0)
	s_barrier
	buffer_gl0_inv
	ds_read2_b32 v[6:7], v75 offset1:44
	ds_read2_b32 v[4:5], v48 offset0:8 offset1:52
	ds_read2_b32 v[34:35], v52 offset0:104 offset1:148
	;; [unrolled: 1-line block ×9, first 2 shown]
	ds_read_b32 v50, v75 offset:3520
	v_sub_f32_e32 v17, v15, v17
	v_sub_f32_e32 v18, v16, v18
	;; [unrolled: 1-line block ×3, first 2 shown]
	v_fma_f32 v12, v12, 2.0, -v59
	v_fma_f32 v13, v13, 2.0, -v60
	;; [unrolled: 1-line block ×5, first 2 shown]
	s_waitcnt lgkmcnt(0)
	s_barrier
	buffer_gl0_inv
	ds_write2_b32 v37, v54, v0 offset1:2
	ds_write2_b32 v38, v55, v3 offset1:2
	;; [unrolled: 1-line block ×10, first 2 shown]
	s_and_saveexec_b32 s1, s0
	s_cbranch_execz .LBB0_27
; %bb.26:
	v_and_or_b32 v0, 0x3fc, v19, v36
	v_fma_f32 v1, v2, 2.0, -v64
	v_lshl_add_u32 v0, v0, 2, 0
	ds_write2_b32 v0, v1, v64 offset1:2
.LBB0_27:
	s_or_b32 exec_lo, exec_lo, s1
	v_and_b32_e32 v53, 3, v72
	s_waitcnt lgkmcnt(0)
	s_barrier
	buffer_gl0_inv
	v_and_b32_e32 v62, 0xff, v72
	v_lshlrev_b32_e32 v0, 4, v53
	v_lshrrev_b32_e32 v55, 2, v72
	v_lshrrev_b32_e32 v56, 2, v74
	;; [unrolled: 1-line block ×3, first 2 shown]
	v_mul_lo_u16 v62, 0xab, v62
	global_load_dwordx4 v[0:3], v0, s[8:9] offset:16
	v_lshrrev_b32_e32 v58, 2, v77
	v_lshrrev_b32_e32 v59, 2, v78
	;; [unrolled: 1-line block ×4, first 2 shown]
	v_and_b32_e32 v63, 0xff, v74
	v_lshrrev_b16 v62, 11, v62
	ds_read2_b32 v[16:17], v75 offset1:44
	ds_read2_b32 v[12:13], v48 offset0:8 offset1:52
	ds_read2_b32 v[46:47], v52 offset0:104 offset1:148
	;; [unrolled: 1-line block ×9, first 2 shown]
	ds_read_b32 v51, v75 offset:3520
	v_mul_u32_u24_e32 v55, 12, v55
	v_mul_u32_u24_e32 v56, 12, v56
	;; [unrolled: 1-line block ×7, first 2 shown]
	v_mul_lo_u16 v63, 0xab, v63
	v_mul_lo_u16 v66, v62, 12
	v_mov_b32_e32 v54, 6
	v_and_b32_e32 v65, 0xff, v76
	v_or_b32_e32 v55, v55, v53
	v_or_b32_e32 v56, v56, v53
	;; [unrolled: 1-line block ×7, first 2 shown]
	v_lshrrev_b16 v61, 11, v63
	v_sub_nc_u16 v68, v72, v66
	v_mul_lo_u16 v65, 0xab, v65
	v_lshl_add_u32 v67, v55, 2, 0
	v_lshl_add_u32 v71, v56, 2, 0
	v_mul_lo_u16 v55, v61, 12
	v_mul_u32_u24_sdwa v56, v68, v54 dst_sel:DWORD dst_unused:UNUSED_PAD src0_sel:BYTE_0 src1_sel:DWORD
	v_lshrrev_b16 v63, 11, v65
	v_lshl_add_u32 v57, v57, 2, 0
	s_waitcnt vmcnt(0) lgkmcnt(0)
	v_sub_nc_u16 v104, v74, v55
	v_lshlrev_b32_e32 v77, 3, v56
	s_barrier
	buffer_gl0_inv
	v_lshl_add_u32 v58, v58, 2, 0
	v_lshl_add_u32 v59, v59, 2, 0
	;; [unrolled: 1-line block ×4, first 2 shown]
	v_cmp_gt_u32_e64 s0, 40, v72
	v_mul_f32_e32 v55, v13, v1
	v_mul_f32_e32 v56, v5, v1
	;; [unrolled: 1-line block ×28, first 2 shown]
	v_fmac_f32_e32 v65, v34, v2
	v_fmac_f32_e32 v55, v5, v0
	v_fma_f32 v5, v13, v0, -v56
	v_fma_f32 v13, v46, v2, -v66
	v_fmac_f32_e32 v78, v35, v2
	v_fmac_f32_e32 v69, v28, v0
	v_fma_f32 v28, v44, v0, -v70
	v_fma_f32 v34, v47, v2, -v79
	v_fmac_f32_e32 v80, v29, v0
	v_fma_f32 v29, v45, v0, -v81
	v_fmac_f32_e32 v82, v32, v2
	;; [unrolled: 2-line block ×3, first 2 shown]
	v_fmac_f32_e32 v86, v33, v2
	v_fmac_f32_e32 v88, v31, v0
	;; [unrolled: 1-line block ×3, first 2 shown]
	v_fma_f32 v30, v40, v0, -v85
	v_fma_f32 v33, v43, v2, -v87
	;; [unrolled: 1-line block ×4, first 2 shown]
	v_fmac_f32_e32 v92, v24, v0
	v_fma_f32 v24, v36, v0, -v93
	v_fmac_f32_e32 v94, v27, v2
	v_fma_f32 v27, v39, v2, -v95
	;; [unrolled: 2-line block ×4, first 2 shown]
	v_add_f32_e32 v3, v55, v65
	v_sub_f32_e32 v25, v5, v13
	v_add_f32_e32 v35, v16, v5
	v_add_f32_e32 v5, v5, v13
	;; [unrolled: 1-line block ×3, first 2 shown]
	v_sub_f32_e32 v39, v28, v34
	v_add_f32_e32 v40, v17, v28
	v_add_f32_e32 v28, v28, v34
	;; [unrolled: 1-line block ×3, first 2 shown]
	v_sub_f32_e32 v41, v69, v78
	v_add_f32_e32 v43, v80, v82
	v_sub_f32_e32 v44, v29, v32
	v_add_f32_e32 v45, v18, v29
	v_add_f32_e32 v29, v29, v32
	;; [unrolled: 1-line block ×5, first 2 shown]
	v_sub_f32_e32 v36, v55, v65
	v_add_f32_e32 v47, v11, v84
	v_sub_f32_e32 v51, v30, v33
	v_add_f32_e32 v55, v19, v30
	v_add_f32_e32 v30, v30, v33
	v_sub_f32_e32 v56, v84, v86
	v_sub_f32_e32 v70, v31, v26
	v_add_f32_e32 v79, v14, v31
	v_add_f32_e32 v31, v31, v26
	;; [unrolled: 1-line block ×4, first 2 shown]
	v_sub_f32_e32 v84, v24, v27
	v_add_f32_e32 v85, v15, v24
	v_add_f32_e32 v24, v24, v27
	v_sub_f32_e32 v87, v92, v94
	v_add_f32_e32 v89, v96, v97
	v_sub_f32_e32 v91, v0, v1
	v_add_f32_e32 v92, v12, v0
	v_add_f32_e32 v0, v0, v1
	v_fma_f32 v3, -0.5, v3, v6
	v_fma_f32 v5, -0.5, v5, v16
	v_fmac_f32_e32 v7, -0.5, v38
	v_fmac_f32_e32 v17, -0.5, v28
	v_add_f32_e32 v42, v10, v80
	v_sub_f32_e32 v46, v80, v82
	v_add_f32_e32 v66, v8, v88
	v_fma_f32 v10, -0.5, v43, v10
	v_fma_f32 v18, -0.5, v29, v18
	v_fmac_f32_e32 v11, -0.5, v50
	v_fma_f32 v8, -0.5, v69, v8
	v_sub_f32_e32 v80, v88, v90
	v_add_f32_e32 v88, v4, v96
	v_sub_f32_e32 v93, v96, v97
	v_add_f32_e32 v2, v2, v65
	v_add_f32_e32 v6, v35, v13
	v_fmac_f32_e32 v19, -0.5, v30
	v_fma_f32 v14, -0.5, v31, v14
	v_fmac_f32_e32 v9, -0.5, v83
	v_fmac_f32_e32 v15, -0.5, v24
	;; [unrolled: 1-line block ×4, first 2 shown]
	v_fmamk_f32 v0, v25, 0xbf5db3d7, v3
	v_fmac_f32_e32 v3, 0x3f5db3d7, v25
	v_fmamk_f32 v25, v36, 0x3f5db3d7, v5
	v_fmac_f32_e32 v5, 0xbf5db3d7, v36
	v_add_f32_e32 v13, v37, v78
	v_add_f32_e32 v16, v40, v34
	v_fmamk_f32 v34, v39, 0xbf5db3d7, v7
	v_fmamk_f32 v35, v41, 0x3f5db3d7, v17
	v_fmac_f32_e32 v7, 0x3f5db3d7, v39
	v_fmac_f32_e32 v17, 0xbf5db3d7, v41
	v_add_f32_e32 v28, v42, v82
	v_add_f32_e32 v32, v45, v32
	;; [unrolled: 1-line block ×3, first 2 shown]
	v_fmamk_f32 v36, v44, 0xbf5db3d7, v10
	v_fmamk_f32 v39, v46, 0x3f5db3d7, v18
	;; [unrolled: 1-line block ×4, first 2 shown]
	v_add_f32_e32 v29, v47, v86
	v_add_f32_e32 v33, v55, v33
	;; [unrolled: 1-line block ×7, first 2 shown]
	v_fmac_f32_e32 v10, 0x3f5db3d7, v44
	v_fmac_f32_e32 v18, 0xbf5db3d7, v46
	v_fmac_f32_e32 v11, 0x3f5db3d7, v51
	v_fmamk_f32 v40, v56, 0x3f5db3d7, v19
	v_fmac_f32_e32 v19, 0xbf5db3d7, v56
	v_fmac_f32_e32 v8, 0x3f5db3d7, v70
	v_fmamk_f32 v41, v80, 0x3f5db3d7, v14
	v_fmac_f32_e32 v14, 0xbf5db3d7, v80
	v_fmamk_f32 v42, v84, 0xbf5db3d7, v9
	;; [unrolled: 2-line block ×5, first 2 shown]
	v_fmac_f32_e32 v12, 0xbf5db3d7, v93
	ds_write2_b32 v67, v2, v0 offset1:4
	ds_write_b32 v67, v3 offset:32
	ds_write2_b32 v71, v13, v34 offset1:4
	ds_write_b32 v71, v7 offset:32
	;; [unrolled: 2-line block ×7, first 2 shown]
	s_waitcnt lgkmcnt(0)
	s_barrier
	buffer_gl0_inv
	ds_read2_b32 v[50:51], v75 offset1:44
	ds_read2_b32 v[65:66], v75 offset0:88 offset1:132
	ds_read2_b32 v[37:38], v48 offset0:8 offset1:52
	;; [unrolled: 1-line block ×9, first 2 shown]
	ds_read_b32 v118, v75 offset:3520
	s_waitcnt lgkmcnt(0)
	s_barrier
	buffer_gl0_inv
	ds_write2_b32 v67, v6, v25 offset1:4
	ds_write_b32 v67, v5 offset:32
	ds_write2_b32 v71, v16, v35 offset1:4
	ds_write_b32 v71, v17 offset:32
	;; [unrolled: 2-line block ×7, first 2 shown]
	v_mul_lo_u16 v1, v63, 12
	v_mul_u32_u24_sdwa v0, v104, v54 dst_sel:DWORD dst_unused:UNUSED_PAD src0_sel:BYTE_0 src1_sel:DWORD
	s_waitcnt lgkmcnt(0)
	s_barrier
	buffer_gl0_inv
	v_sub_nc_u16 v2, v76, v1
	v_lshlrev_b32_e32 v0, 3, v0
	s_clause 0x2
	global_load_dwordx4 v[24:27], v77, s[8:9] offset:80
	global_load_dwordx4 v[29:32], v77, s[8:9] offset:96
	;; [unrolled: 1-line block ×3, first 2 shown]
	v_mul_u32_u24_sdwa v1, v2, v54 dst_sel:DWORD dst_unused:UNUSED_PAD src0_sel:BYTE_0 src1_sel:DWORD
	s_clause 0x1
	global_load_dwordx4 v[44:47], v0, s[8:9] offset:80
	global_load_dwordx4 v[57:60], v0, s[8:9] offset:96
	v_mov_b32_e32 v3, 2
	v_add_nc_u32_e32 v4, 0x600, v75
	v_lshlrev_b32_e32 v1, 3, v1
	s_clause 0x3
	global_load_dwordx4 v[76:79], v0, s[8:9] offset:112
	global_load_dwordx4 v[80:83], v1, s[8:9] offset:80
	;; [unrolled: 1-line block ×4, first 2 shown]
	v_mov_b32_e32 v0, 0x150
	v_lshlrev_b32_sdwa v7, v3, v68 dst_sel:DWORD dst_unused:UNUSED_PAD src0_sel:DWORD src1_sel:BYTE_0
	ds_read2_b32 v[102:103], v48 offset0:8 offset1:52
	v_lshlrev_b32_sdwa v2, v3, v2 dst_sel:DWORD dst_unused:UNUSED_PAD src0_sel:DWORD src1_sel:BYTE_0
	ds_read2_b32 v[108:109], v52 offset0:104 offset1:148
	v_mul_u32_u24_sdwa v5, v62, v0 dst_sel:DWORD dst_unused:UNUSED_PAD src0_sel:WORD_0 src1_sel:DWORD
	v_mul_u32_u24_sdwa v6, v61, v0 dst_sel:DWORD dst_unused:UNUSED_PAD src0_sel:WORD_0 src1_sel:DWORD
	;; [unrolled: 1-line block ×3, first 2 shown]
	ds_read2_b32 v[0:1], v75 offset0:88 offset1:132
	ds_read2_b32 v[110:111], v49 offset0:24 offset1:68
	v_lshlrev_b32_sdwa v9, v3, v104 dst_sel:DWORD dst_unused:UNUSED_PAD src0_sel:DWORD src1_sel:BYTE_0
	ds_read2_b32 v[104:105], v48 offset0:96 offset1:140
	ds_read2_b32 v[106:107], v52 offset0:16 offset1:60
	v_add3_u32 v7, 0, v5, v7
	v_add3_u32 v5, 0, v8, v2
	ds_read2_b32 v[2:3], v75 offset1:44
	ds_read2_b32 v[112:113], v75 offset0:176 offset1:220
	ds_read2_b32 v[114:115], v48 offset0:184 offset1:228
	;; [unrolled: 1-line block ×3, first 2 shown]
	ds_read_b32 v49, v75 offset:3520
	v_add3_u32 v6, 0, v6, v9
	s_waitcnt vmcnt(0) lgkmcnt(0)
	s_barrier
	buffer_gl0_inv
	v_mul_f32_e32 v40, v1, v25
	v_mul_f32_e32 v39, v102, v27
	v_mul_f32_e32 v43, v109, v34
	v_mul_f32_e32 v54, v110, v36
	v_mul_f32_e32 v19, v66, v25
	v_mul_f32_e32 v25, v37, v27
	v_mul_f32_e32 v41, v105, v30
	v_mul_f32_e32 v27, v70, v30
	v_mul_f32_e32 v42, v106, v32
	v_mul_f32_e32 v30, v55, v32
	v_mul_f32_e32 v32, v93, v34
	v_mul_f32_e32 v34, v94, v36
	v_mul_f32_e32 v14, v103, v47
	v_mul_f32_e32 v16, v112, v45
	v_mul_f32_e32 v18, v116, v77
	v_mul_f32_e32 v28, v111, v79
	v_mul_f32_e32 v36, v96, v45
	v_mul_f32_e32 v45, v38, v47
	v_mul_f32_e32 v15, v114, v58
	v_mul_f32_e32 v47, v98, v58
	v_mul_f32_e32 v17, v107, v60
	v_mul_f32_e32 v53, v56, v60
	v_mul_f32_e32 v71, v100, v77
	v_mul_f32_e32 v60, v95, v79
	v_mul_f32_e32 v8, v113, v81
	v_mul_f32_e32 v9, v104, v83
	v_mul_f32_e32 v12, v117, v89
	v_mul_f32_e32 v13, v49, v91
	v_fmac_f32_e32 v40, v66, v24
	v_fmac_f32_e32 v39, v37, v26
	;; [unrolled: 1-line block ×4, first 2 shown]
	v_fma_f32 v62, v1, v24, -v19
	v_fma_f32 v63, v102, v26, -v25
	v_fmac_f32_e32 v41, v70, v29
	v_fma_f32 v61, v105, v29, -v27
	v_fmac_f32_e32 v42, v55, v31
	v_fma_f32 v66, v106, v31, -v30
	v_fma_f32 v67, v109, v33, -v32
	v_fma_f32 v68, v110, v35, -v34
	v_fmac_f32_e32 v14, v38, v46
	v_fmac_f32_e32 v16, v96, v44
	;; [unrolled: 1-line block ×4, first 2 shown]
	v_mul_f32_e32 v77, v97, v81
	v_mul_f32_e32 v79, v69, v83
	v_mul_f32_e32 v10, v115, v85
	v_mul_f32_e32 v81, v99, v85
	v_mul_f32_e32 v11, v108, v87
	v_mul_f32_e32 v83, v92, v87
	v_mul_f32_e32 v85, v101, v89
	v_mul_f32_e32 v87, v118, v91
	v_fma_f32 v55, v103, v46, -v45
	v_fma_f32 v58, v112, v44, -v36
	v_fmac_f32_e32 v17, v56, v59
	v_fma_f32 v56, v107, v59, -v53
	v_fmac_f32_e32 v15, v98, v57
	v_fma_f32 v57, v114, v57, -v47
	v_fma_f32 v60, v111, v78, -v60
	;; [unrolled: 1-line block ×3, first 2 shown]
	v_fmac_f32_e32 v8, v97, v80
	v_fmac_f32_e32 v9, v69, v82
	;; [unrolled: 1-line block ×4, first 2 shown]
	v_add_f32_e32 v24, v40, v54
	v_add_f32_e32 v26, v39, v43
	v_sub_f32_e32 v25, v62, v68
	v_sub_f32_e32 v27, v63, v67
	v_add_f32_e32 v30, v41, v42
	v_sub_f32_e32 v31, v66, v61
	v_add_f32_e32 v32, v16, v28
	v_add_f32_e32 v34, v14, v18
	v_fma_f32 v19, v113, v80, -v77
	v_fma_f32 v29, v104, v82, -v79
	v_fmac_f32_e32 v10, v99, v84
	v_fma_f32 v1, v115, v84, -v81
	v_fmac_f32_e32 v11, v92, v86
	v_fma_f32 v36, v108, v86, -v83
	v_fma_f32 v37, v117, v88, -v85
	;; [unrolled: 1-line block ×3, first 2 shown]
	v_sub_f32_e32 v33, v58, v60
	v_sub_f32_e32 v35, v55, v59
	v_add_f32_e32 v44, v15, v17
	v_sub_f32_e32 v45, v56, v57
	v_add_f32_e32 v46, v8, v13
	v_add_f32_e32 v49, v9, v12
	v_add_f32_e32 v71, v26, v24
	v_sub_f32_e32 v76, v26, v24
	v_sub_f32_e32 v24, v24, v30
	;; [unrolled: 1-line block ×3, first 2 shown]
	v_add_f32_e32 v77, v31, v27
	v_sub_f32_e32 v78, v31, v27
	v_sub_f32_e32 v27, v27, v25
	v_add_f32_e32 v79, v34, v32
	v_sub_f32_e32 v47, v19, v38
	v_sub_f32_e32 v53, v29, v37
	;; [unrolled: 3-line block ×3, first 2 shown]
	v_sub_f32_e32 v34, v44, v34
	v_add_f32_e32 v81, v45, v35
	v_sub_f32_e32 v82, v45, v35
	v_sub_f32_e32 v35, v35, v33
	v_add_f32_e32 v83, v49, v46
	v_add_f32_e32 v30, v30, v71
	v_sub_f32_e32 v31, v25, v31
	v_sub_f32_e32 v32, v32, v44
	v_add_f32_e32 v25, v77, v25
	v_mul_f32_e32 v24, 0x3f4a47b2, v24
	v_mul_f32_e32 v71, 0x3d64c772, v26
	;; [unrolled: 1-line block ×4, first 2 shown]
	v_add_f32_e32 v44, v44, v79
	v_sub_f32_e32 v45, v33, v45
	v_sub_f32_e32 v84, v49, v46
	;; [unrolled: 1-line block ×4, first 2 shown]
	v_add_f32_e32 v85, v70, v53
	v_sub_f32_e32 v86, v70, v53
	v_sub_f32_e32 v53, v53, v47
	v_add_f32_e32 v33, v81, v33
	v_mul_f32_e32 v79, 0x3d64c772, v34
	v_mul_f32_e32 v81, 0x3f08b237, v82
	;; [unrolled: 1-line block ×3, first 2 shown]
	v_add_f32_e32 v69, v69, v83
	v_add_f32_e32 v50, v50, v30
	v_mul_f32_e32 v32, 0x3f4a47b2, v32
	v_fmamk_f32 v26, v26, 0x3d64c772, v24
	v_fma_f32 v71, 0x3f3bfb3b, v76, -v71
	v_fma_f32 v24, 0xbf3bfb3b, v76, -v24
	v_fmamk_f32 v76, v31, 0xbeae86e6, v77
	v_fma_f32 v77, 0xbf5ff5aa, v27, -v77
	v_fma_f32 v31, 0x3eae86e6, v31, -v78
	v_add_f32_e32 v51, v51, v44
	v_sub_f32_e32 v70, v47, v70
	v_add_f32_e32 v47, v85, v47
	v_mul_f32_e32 v46, 0x3f4a47b2, v46
	v_mul_f32_e32 v83, 0x3d64c772, v49
	;; [unrolled: 1-line block ×4, first 2 shown]
	v_fma_f32 v78, 0x3f3bfb3b, v80, -v79
	v_fmamk_f32 v79, v45, 0xbeae86e6, v81
	v_fma_f32 v35, 0xbf5ff5aa, v35, -v81
	v_fma_f32 v45, 0x3eae86e6, v45, -v82
	v_add_f32_e32 v27, v65, v69
	v_fmamk_f32 v30, v30, 0xbf955555, v50
	v_fmamk_f32 v34, v34, 0x3d64c772, v32
	v_fmac_f32_e32 v76, 0xbee1c552, v25
	v_fmac_f32_e32 v77, 0xbee1c552, v25
	v_fmac_f32_e32 v31, 0xbee1c552, v25
	v_fmamk_f32 v25, v44, 0xbf955555, v51
	v_fma_f32 v32, 0xbf3bfb3b, v80, -v32
	v_fmamk_f32 v49, v49, 0x3d64c772, v46
	v_fma_f32 v65, 0x3f3bfb3b, v84, -v83
	v_fma_f32 v46, 0xbf3bfb3b, v84, -v46
	v_fmamk_f32 v80, v70, 0xbeae86e6, v85
	v_fma_f32 v53, 0xbf5ff5aa, v53, -v85
	v_fma_f32 v70, 0x3eae86e6, v70, -v86
	v_fmac_f32_e32 v79, 0xbee1c552, v33
	v_fmac_f32_e32 v35, 0xbee1c552, v33
	v_fmac_f32_e32 v45, 0xbee1c552, v33
	v_fmamk_f32 v33, v69, 0xbf955555, v27
	v_add_f32_e32 v26, v26, v30
	v_add_f32_e32 v44, v71, v30
	;; [unrolled: 1-line block ×4, first 2 shown]
	v_fmac_f32_e32 v80, 0xbee1c552, v47
	v_fmac_f32_e32 v53, 0xbee1c552, v47
	v_fmac_f32_e32 v70, 0xbee1c552, v47
	v_add_f32_e32 v34, v78, v25
	v_add_f32_e32 v25, v32, v25
	;; [unrolled: 1-line block ×7, first 2 shown]
	v_sub_f32_e32 v71, v44, v77
	v_add_f32_e32 v44, v77, v44
	v_sub_f32_e32 v77, v24, v31
	v_sub_f32_e32 v76, v26, v76
	v_add_f32_e32 v78, v79, v30
	v_add_f32_e32 v81, v45, v25
	v_sub_f32_e32 v82, v34, v35
	v_add_f32_e32 v24, v35, v34
	v_sub_f32_e32 v25, v25, v45
	v_sub_f32_e32 v26, v30, v79
	v_add_f32_e32 v34, v80, v47
	v_add_f32_e32 v35, v70, v46
	v_sub_f32_e32 v32, v49, v53
	v_add_f32_e32 v33, v53, v49
	v_sub_f32_e32 v30, v46, v70
	v_sub_f32_e32 v31, v47, v80
	ds_write2_b32 v7, v50, v65 offset1:12
	ds_write2_b32 v7, v69, v71 offset0:24 offset1:36
	ds_write2_b32 v7, v44, v77 offset0:48 offset1:60
	ds_write_b32 v7, v76 offset:288
	ds_write2_b32 v6, v51, v78 offset1:12
	ds_write2_b32 v6, v81, v82 offset0:24 offset1:36
	ds_write2_b32 v6, v24, v25 offset0:48 offset1:60
	ds_write_b32 v6, v26 offset:288
	;; [unrolled: 4-line block ×3, first 2 shown]
	s_waitcnt lgkmcnt(0)
	s_barrier
	buffer_gl0_inv
	ds_read2_b32 v[44:45], v75 offset1:84
	ds_read2_b32 v[50:51], v75 offset0:168 offset1:252
	ds_read2_b32 v[46:47], v48 offset0:80 offset1:164
	;; [unrolled: 1-line block ×4, first 2 shown]
	ds_read_b32 v65, v75 offset:3360
	s_and_saveexec_b32 s1, s0
	s_cbranch_execz .LBB0_29
; %bb.28:
	v_add_nc_u32_e32 v26, 0x200, v75
	v_add_nc_u32_e32 v30, 0x400, v75
	;; [unrolled: 1-line block ×4, first 2 shown]
	ds_read2_b32 v[24:25], v75 offset0:44 offset1:128
	ds_read2_b32 v[26:27], v26 offset0:84 offset1:168
	;; [unrolled: 1-line block ×5, first 2 shown]
	ds_read_b32 v73, v75 offset:3536
.LBB0_29:
	s_or_b32 exec_lo, exec_lo, s1
	v_add_f32_e32 v62, v62, v68
	v_add_f32_e32 v63, v63, v67
	v_sub_f32_e32 v40, v40, v54
	v_add_f32_e32 v54, v61, v66
	v_sub_f32_e32 v39, v39, v43
	v_sub_f32_e32 v41, v42, v41
	v_add_f32_e32 v42, v63, v62
	v_sub_f32_e32 v43, v63, v62
	v_sub_f32_e32 v61, v62, v54
	;; [unrolled: 1-line block ×3, first 2 shown]
	v_add_f32_e32 v63, v41, v39
	v_add_f32_e32 v42, v54, v42
	v_sub_f32_e32 v54, v41, v39
	v_sub_f32_e32 v41, v40, v41
	;; [unrolled: 1-line block ×3, first 2 shown]
	v_add_f32_e32 v40, v63, v40
	v_add_f32_e32 v2, v2, v42
	v_mul_f32_e32 v61, 0x3f4a47b2, v61
	v_mul_f32_e32 v63, 0x3d64c772, v62
	v_mul_f32_e32 v54, 0x3f08b237, v54
	v_mul_f32_e32 v66, 0xbf5ff5aa, v39
	v_fmamk_f32 v42, v42, 0xbf955555, v2
	v_fmamk_f32 v62, v62, 0x3d64c772, v61
	v_fma_f32 v63, 0x3f3bfb3b, v43, -v63
	v_fma_f32 v39, 0xbf5ff5aa, v39, -v54
	;; [unrolled: 1-line block ×3, first 2 shown]
	v_fmamk_f32 v61, v41, 0xbeae86e6, v54
	v_fma_f32 v41, 0x3eae86e6, v41, -v66
	v_add_f32_e32 v54, v62, v42
	v_add_f32_e32 v62, v63, v42
	v_fmac_f32_e32 v39, 0xbee1c552, v40
	v_fmac_f32_e32 v61, 0xbee1c552, v40
	;; [unrolled: 1-line block ×3, first 2 shown]
	v_add_f32_e32 v40, v55, v59
	v_sub_f32_e32 v16, v16, v28
	v_add_f32_e32 v67, v39, v62
	v_sub_f32_e32 v62, v62, v39
	v_add_f32_e32 v39, v58, v60
	v_add_f32_e32 v28, v57, v56
	v_sub_f32_e32 v14, v14, v18
	v_sub_f32_e32 v15, v17, v15
	v_add_f32_e32 v42, v43, v42
	v_add_f32_e32 v17, v40, v39
	v_sub_f32_e32 v18, v40, v39
	v_sub_f32_e32 v39, v39, v28
	;; [unrolled: 1-line block ×3, first 2 shown]
	v_add_f32_e32 v43, v15, v14
	v_add_f32_e32 v17, v28, v17
	v_sub_f32_e32 v28, v15, v14
	v_sub_f32_e32 v15, v16, v15
	;; [unrolled: 1-line block ×3, first 2 shown]
	v_add_f32_e32 v16, v43, v16
	v_add_f32_e32 v3, v3, v17
	v_mul_f32_e32 v43, 0x3d64c772, v40
	v_mul_f32_e32 v28, 0x3f08b237, v28
	;; [unrolled: 1-line block ×4, first 2 shown]
	v_fmamk_f32 v17, v17, 0xbf955555, v3
	v_fma_f32 v43, 0x3f3bfb3b, v18, -v43
	v_fma_f32 v14, 0xbf5ff5aa, v14, -v28
	v_fmamk_f32 v40, v40, 0x3d64c772, v39
	v_fma_f32 v18, 0xbf3bfb3b, v18, -v39
	v_fmamk_f32 v39, v15, 0xbeae86e6, v28
	v_add_f32_e32 v28, v43, v17
	v_fmac_f32_e32 v14, 0xbee1c552, v16
	v_sub_f32_e32 v8, v8, v13
	v_add_f32_e32 v1, v1, v36
	v_sub_f32_e32 v9, v9, v12
	v_sub_f32_e32 v10, v11, v10
	v_add_f32_e32 v56, v14, v28
	v_sub_f32_e32 v28, v28, v14
	v_add_f32_e32 v14, v19, v38
	v_add_f32_e32 v19, v29, v37
	v_fma_f32 v15, 0x3eae86e6, v15, -v55
	v_add_f32_e32 v40, v40, v17
	v_add_f32_e32 v17, v18, v17
	v_sub_f32_e32 v13, v14, v1
	v_add_f32_e32 v11, v19, v14
	v_sub_f32_e32 v12, v19, v14
	v_sub_f32_e32 v14, v1, v19
	v_add_f32_e32 v19, v10, v9
	v_fmac_f32_e32 v39, 0xbee1c552, v16
	v_add_f32_e32 v1, v1, v11
	v_sub_f32_e32 v11, v10, v9
	v_sub_f32_e32 v9, v9, v8
	;; [unrolled: 1-line block ×3, first 2 shown]
	v_add_f32_e32 v8, v19, v8
	v_add_f32_e32 v37, v0, v1
	v_mul_f32_e32 v0, 0x3f4a47b2, v13
	v_mul_f32_e32 v13, 0x3d64c772, v14
	;; [unrolled: 1-line block ×4, first 2 shown]
	v_fmamk_f32 v1, v1, 0xbf955555, v37
	v_fmamk_f32 v14, v14, 0x3d64c772, v0
	v_fma_f32 v13, 0x3f3bfb3b, v12, -v13
	v_fma_f32 v0, 0xbf3bfb3b, v12, -v0
	v_fmamk_f32 v12, v10, 0xbeae86e6, v11
	v_fma_f32 v10, 0x3eae86e6, v10, -v19
	v_fma_f32 v9, 0xbf5ff5aa, v9, -v11
	v_fmac_f32_e32 v15, 0xbee1c552, v16
	v_add_f32_e32 v0, v0, v1
	v_sub_f32_e32 v63, v54, v61
	v_fmac_f32_e32 v10, 0xbee1c552, v8
	v_add_f32_e32 v11, v14, v1
	v_add_f32_e32 v13, v13, v1
	v_fmac_f32_e32 v12, 0xbee1c552, v8
	v_fmac_f32_e32 v9, 0xbee1c552, v8
	v_sub_f32_e32 v66, v42, v41
	v_add_f32_e32 v16, v41, v42
	v_sub_f32_e32 v43, v0, v10
	v_add_f32_e32 v38, v10, v0
	v_add_nc_u32_e32 v0, 0x400, v75
	v_add_f32_e32 v18, v61, v54
	v_sub_f32_e32 v54, v40, v39
	v_sub_f32_e32 v55, v17, v15
	v_add_nc_u32_e32 v1, 0x800, v75
	v_add_f32_e32 v29, v15, v17
	v_add_f32_e32 v36, v39, v40
	v_sub_f32_e32 v42, v11, v12
	v_add_f32_e32 v40, v9, v13
	v_sub_f32_e32 v41, v13, v9
	v_add_f32_e32 v39, v12, v11
	s_waitcnt lgkmcnt(0)
	s_barrier
	buffer_gl0_inv
	ds_write2_b32 v7, v2, v63 offset1:12
	ds_write2_b32 v7, v66, v67 offset0:24 offset1:36
	ds_write2_b32 v7, v62, v16 offset0:48 offset1:60
	ds_write_b32 v7, v18 offset:288
	ds_write2_b32 v6, v3, v54 offset1:12
	ds_write2_b32 v6, v55, v56 offset0:24 offset1:36
	ds_write2_b32 v6, v28, v29 offset0:48 offset1:60
	ds_write_b32 v6, v36 offset:288
	;; [unrolled: 4-line block ×3, first 2 shown]
	s_waitcnt lgkmcnt(0)
	s_barrier
	buffer_gl0_inv
	ds_read2_b32 v[54:55], v75 offset1:84
	ds_read2_b32 v[60:61], v75 offset0:168 offset1:252
	ds_read2_b32 v[56:57], v0 offset0:80 offset1:164
	;; [unrolled: 1-line block ×4, first 2 shown]
	ds_read_b32 v68, v75 offset:3360
	s_and_saveexec_b32 s1, s0
	s_cbranch_execz .LBB0_31
; %bb.30:
	v_add_nc_u32_e32 v2, 0x200, v75
	v_add_nc_u32_e32 v3, 0xa00, v75
	ds_read2_b32 v[28:29], v75 offset0:44 offset1:128
	ds_read2_b32 v[42:43], v0 offset0:124 offset1:208
	;; [unrolled: 1-line block ×5, first 2 shown]
	ds_read_b32 v64, v75 offset:3536
.LBB0_31:
	s_or_b32 exec_lo, exec_lo, s1
	s_and_saveexec_b32 s1, vcc_lo
	s_cbranch_execz .LBB0_34
; %bb.32:
	v_mul_u32_u24_e32 v0, 10, v72
	v_lshrrev_b32_e32 v66, 2, v72
	v_mul_lo_u32 v67, s3, v22
	v_mul_lo_u32 v69, s2, v23
	v_mad_u64_u32 v[22:23], null, s2, v22, 0
	v_lshlrev_b32_e32 v0, 3, v0
	v_mul_hi_u32 v66, 0x30c30c31, v66
	v_lshlrev_b64 v[20:21], 3, v[20:21]
	s_clause 0x4
	global_load_dwordx4 v[12:15], v0, s[8:9] offset:656
	global_load_dwordx4 v[16:19], v0, s[8:9] offset:720
	;; [unrolled: 1-line block ×5, first 2 shown]
	v_add3_u32 v23, v23, v69, v67
	v_lshrrev_b32_e32 v66, 2, v66
	v_lshlrev_b64 v[22:23], 3, v[22:23]
	v_mul_lo_u32 v66, 0x54, v66
	v_add_co_u32 v22, vcc_lo, s14, v22
	v_add_co_ci_u32_e32 v23, vcc_lo, s15, v23, vcc_lo
	v_sub_nc_u32_e32 v66, v72, v66
	v_lshlrev_b32_e32 v69, 3, v66
	v_add_co_u32 v66, vcc_lo, v22, v20
	v_add_co_ci_u32_e32 v67, vcc_lo, v23, v21, vcc_lo
	v_add_nc_u32_e32 v22, 44, v72
	v_add_co_u32 v20, vcc_lo, v66, v69
	v_add_co_ci_u32_e32 v21, vcc_lo, 0, v67, vcc_lo
	v_cmp_gt_u32_e32 vcc_lo, 0x54, v22
	v_add_co_u32 v69, s1, 0x800, v20
	v_add_co_ci_u32_e64 v70, s1, 0, v21, s1
	v_add_co_u32 v75, s1, 0x1000, v20
	v_add_co_ci_u32_e64 v76, s1, 0, v21, s1
	;; [unrolled: 2-line block ×3, first 2 shown]
	s_waitcnt vmcnt(4) lgkmcnt(5)
	v_mul_f32_e32 v23, v55, v13
	s_waitcnt vmcnt(3) lgkmcnt(0)
	v_mul_f32_e32 v71, v68, v19
	v_mul_f32_e32 v19, v65, v19
	;; [unrolled: 1-line block ×7, first 2 shown]
	s_waitcnt vmcnt(2)
	v_mul_f32_e32 v81, v61, v5
	s_waitcnt vmcnt(1)
	v_mul_f32_e32 v82, v62, v11
	v_mul_f32_e32 v11, v52, v11
	;; [unrolled: 1-line block ×7, first 2 shown]
	s_waitcnt vmcnt(0)
	v_mul_f32_e32 v85, v57, v1
	v_mul_f32_e32 v86, v58, v3
	;; [unrolled: 1-line block ×4, first 2 shown]
	v_fmac_f32_e32 v23, v45, v12
	v_fmac_f32_e32 v71, v65, v18
	v_fma_f32 v45, v68, v18, -v19
	v_fma_f32 v12, v55, v12, -v13
	v_fmac_f32_e32 v79, v50, v14
	v_fmac_f32_e32 v80, v53, v16
	v_fma_f32 v50, v63, v16, -v17
	v_fma_f32 v13, v60, v14, -v15
	;; [unrolled: 4-line block ×5, first 2 shown]
	v_sub_f32_e32 v1, v23, v71
	v_add_f32_e32 v3, v12, v45
	v_add_f32_e32 v18, v23, v71
	v_sub_f32_e32 v19, v12, v45
	v_add_f32_e32 v12, v54, v12
	v_add_f32_e32 v23, v44, v23
	v_sub_f32_e32 v7, v79, v80
	v_add_f32_e32 v8, v13, v50
	v_sub_f32_e32 v9, v81, v82
	v_sub_f32_e32 v11, v83, v84
	;; [unrolled: 1-line block ×7, first 2 shown]
	v_mul_f32_e32 v56, 0xbf0a6770, v1
	v_mul_f32_e32 v61, 0xbf0a6770, v19
	;; [unrolled: 1-line block ×10, first 2 shown]
	v_add_f32_e32 v12, v12, v13
	v_add_f32_e32 v13, v23, v79
	;; [unrolled: 1-line block ×9, first 2 shown]
	v_mul_f32_e32 v57, 0xbf68dda4, v7
	v_mul_f32_e32 v58, 0xbf7d64f0, v9
	;; [unrolled: 1-line block ×40, first 2 shown]
	v_fmamk_f32 v115, v3, 0x3f575c64, v56
	v_fma_f32 v120, 0x3f575c64, v18, -v61
	v_fmamk_f32 v123, v3, 0x3ed4b147, v68
	v_fma_f32 v128, 0x3ed4b147, v18, -v91
	v_fmamk_f32 v131, v3, 0xbe11bafb, v95
	v_fma_f32 v136, 0xbe11bafb, v18, -v100
	v_fmamk_f32 v139, v3, 0xbf27a4f4, v104
	v_fmamk_f32 v143, v3, 0xbf75a155, v1
	v_fma_f32 v1, 0xbf75a155, v3, -v1
	v_fma_f32 v104, 0xbf27a4f4, v3, -v104
	v_fma_f32 v95, 0xbe11bafb, v3, -v95
	v_fma_f32 v68, 0x3ed4b147, v3, -v68
	v_fma_f32 v3, 0x3f575c64, v3, -v56
	v_fma_f32 v144, 0xbf27a4f4, v18, -v109
	v_fma_f32 v145, 0xbf75a155, v18, -v19
	v_fmac_f32_e32 v19, 0xbf75a155, v18
	v_fmac_f32_e32 v109, 0xbf27a4f4, v18
	;; [unrolled: 1-line block ×5, first 2 shown]
	v_add_f32_e32 v4, v12, v4
	v_add_f32_e32 v12, v13, v81
	v_fmamk_f32 v116, v8, 0x3ed4b147, v57
	v_fmamk_f32 v117, v10, 0xbe11bafb, v58
	v_fmamk_f32 v118, v15, 0xbf27a4f4, v59
	v_fmamk_f32 v119, v17, 0xbf75a155, v60
	v_fma_f32 v121, 0x3ed4b147, v46, -v62
	v_fma_f32 v122, 0xbe11bafb, v48, -v63
	v_fmamk_f32 v124, v8, 0xbf27a4f4, v87
	v_fmamk_f32 v125, v10, 0xbf75a155, v88
	v_fmamk_f32 v126, v15, 0xbe11bafb, v89
	v_fmamk_f32 v127, v17, 0x3f575c64, v90
	v_fma_f32 v129, 0xbf27a4f4, v46, -v92
	v_fma_f32 v130, 0xbf75a155, v48, -v93
	;; [unrolled: 6-line block ×4, first 2 shown]
	v_fmamk_f32 v147, v8, 0x3f575c64, v7
	v_fma_f32 v7, 0x3f575c64, v8, -v7
	v_fma_f32 v105, 0xbe11bafb, v8, -v105
	v_fma_f32 v96, 0xbf75a155, v8, -v96
	v_fma_f32 v87, 0xbf27a4f4, v8, -v87
	v_fma_f32 v8, 0x3ed4b147, v8, -v57
	v_fmamk_f32 v57, v10, 0xbf27a4f4, v9
	v_fma_f32 v9, 0xbf27a4f4, v10, -v9
	v_fma_f32 v106, 0x3f575c64, v10, -v106
	v_fma_f32 v97, 0x3ed4b147, v10, -v97
	v_fma_f32 v88, 0xbf75a155, v10, -v88
	v_fma_f32 v10, 0xbe11bafb, v10, -v58
	;; [unrolled: 6-line block ×4, first 2 shown]
	v_fma_f32 v17, 0x3f575c64, v46, -v47
	v_fmac_f32_e32 v47, 0x3f575c64, v46
	v_fmac_f32_e32 v110, 0xbe11bafb, v46
	;; [unrolled: 1-line block ×5, first 2 shown]
	v_fma_f32 v46, 0xbf27a4f4, v48, -v49
	v_fmac_f32_e32 v49, 0xbf27a4f4, v48
	v_fmac_f32_e32 v111, 0x3f575c64, v48
	;; [unrolled: 1-line block ×5, first 2 shown]
	v_fma_f32 v48, 0x3ed4b147, v51, -v52
	v_fmac_f32_e32 v52, 0x3ed4b147, v51
	v_fma_f32 v148, 0xbf75a155, v51, -v112
	v_fmac_f32_e32 v112, 0xbf75a155, v51
	;; [unrolled: 2-line block ×10, first 2 shown]
	v_add_f32_e32 v55, v54, v115
	v_add_f32_e32 v115, v54, v123
	;; [unrolled: 1-line block ×112, first 2 shown]
	global_store_dwordx2 v[20:21], v[18:19], off offset:672
	global_store_dwordx2 v[20:21], v[16:17], off offset:1344
	;; [unrolled: 1-line block ×5, first 2 shown]
	v_add_f32_e32 v11, v45, v23
	v_add_f32_e32 v10, v71, v44
	global_store_dwordx2 v[69:70], v[8:9], off offset:1984
	global_store_dwordx2 v[75:76], v[6:7], off offset:608
	;; [unrolled: 1-line block ×4, first 2 shown]
	global_store_dwordx2 v[20:21], v[10:11], off
	global_store_dwordx2 v[77:78], v[0:1], off offset:576
	s_and_b32 exec_lo, exec_lo, vcc_lo
	s_cbranch_execz .LBB0_34
; %bb.33:
	v_subrev_nc_u32_e32 v0, 40, v72
	v_mov_b32_e32 v21, 0
	v_cndmask_b32_e64 v0, v0, v74, s0
	v_mov_b32_e32 v23, v21
	v_mul_i32_i24_e32 v20, 10, v0
	v_lshlrev_b64 v[22:23], 3, v[22:23]
	v_lshlrev_b64 v[0:1], 3, v[20:21]
	v_add_nc_u32_e32 v20, 0x80, v72
	v_lshlrev_b64 v[44:45], 3, v[20:21]
	v_add_co_u32 v0, vcc_lo, s8, v0
	v_add_co_ci_u32_e32 v1, vcc_lo, s9, v1, vcc_lo
	v_add_nc_u32_e32 v20, 0xd4, v72
	v_add_co_u32 v22, vcc_lo, v66, v22
	s_clause 0x4
	global_load_dwordx4 v[16:19], v[0:1], off offset:656
	global_load_dwordx4 v[12:15], v[0:1], off offset:672
	;; [unrolled: 1-line block ×5, first 2 shown]
	v_add_co_ci_u32_e32 v23, vcc_lo, v67, v23, vcc_lo
	v_lshlrev_b64 v[46:47], 3, v[20:21]
	v_add_nc_u32_e32 v20, 0x128, v72
	v_add_co_u32 v44, vcc_lo, v66, v44
	v_add_co_ci_u32_e32 v45, vcc_lo, v67, v45, vcc_lo
	v_lshlrev_b64 v[48:49], 3, v[20:21]
	v_add_nc_u32_e32 v20, 0x17c, v72
	v_add_co_u32 v46, vcc_lo, v66, v46
	;; [unrolled: 4-line block ×8, first 2 shown]
	v_add_co_ci_u32_e32 v59, vcc_lo, v67, v59, vcc_lo
	s_waitcnt vmcnt(4)
	v_mul_f32_e32 v62, v29, v17
	v_mul_f32_e32 v17, v25, v17
	;; [unrolled: 1-line block ×4, first 2 shown]
	s_waitcnt vmcnt(0)
	v_mul_f32_e32 v74, v39, v1
	v_mul_f32_e32 v1, v31, v1
	;; [unrolled: 1-line block ×4, first 2 shown]
	v_fmac_f32_e32 v62, v25, v16
	v_fma_f32 v16, v29, v16, -v17
	v_mul_f32_e32 v65, v37, v13
	v_mul_f32_e32 v13, v27, v13
	;; [unrolled: 1-line block ×12, first 2 shown]
	v_fmac_f32_e32 v63, v26, v18
	v_fma_f32 v17, v36, v18, -v19
	v_fmac_f32_e32 v74, v31, v0
	v_fma_f32 v25, v64, v2, -v3
	v_fma_f32 v18, v39, v0, -v1
	v_add_f32_e32 v0, v24, v62
	v_add_f32_e32 v1, v28, v16
	v_fmac_f32_e32 v65, v27, v12
	v_fma_f32 v12, v37, v12, -v13
	v_fma_f32 v13, v42, v14, -v15
	v_fmac_f32_e32 v69, v35, v8
	v_fma_f32 v8, v43, v8, -v9
	v_fma_f32 v9, v40, v10, -v11
	;; [unrolled: 3-line block ×3, first 2 shown]
	v_fmac_f32_e32 v75, v73, v2
	v_add_f32_e32 v3, v16, v25
	v_sub_f32_e32 v7, v16, v25
	v_add_f32_e32 v0, v0, v63
	v_add_f32_e32 v1, v1, v17
	v_fmac_f32_e32 v68, v34, v14
	v_fmac_f32_e32 v70, v32, v10
	;; [unrolled: 1-line block ×3, first 2 shown]
	v_add_f32_e32 v2, v62, v75
	v_sub_f32_e32 v6, v62, v75
	v_add_f32_e32 v11, v17, v18
	v_sub_f32_e32 v15, v17, v18
	;; [unrolled: 2-line block ×5, first 2 shown]
	v_mul_f32_e32 v17, 0xbf0a6770, v7
	v_mul_f32_e32 v37, 0x3f575c64, v3
	;; [unrolled: 1-line block ×9, first 2 shown]
	v_add_f32_e32 v0, v0, v65
	v_add_f32_e32 v1, v1, v12
	v_mul_f32_e32 v3, 0xbf75a155, v3
	v_add_f32_e32 v10, v63, v74
	v_sub_f32_e32 v14, v63, v74
	v_add_f32_e32 v16, v65, v72
	v_sub_f32_e32 v26, v65, v72
	;; [unrolled: 2-line block ×4, first 2 shown]
	v_mul_f32_e32 v62, 0xbf68dda4, v15
	v_mul_f32_e32 v63, 0x3ed4b147, v11
	;; [unrolled: 1-line block ×40, first 2 shown]
	v_fmamk_f32 v12, v2, 0x3f575c64, v17
	v_fmamk_f32 v65, v6, 0x3f0a6770, v37
	v_fma_f32 v17, 0x3f575c64, v2, -v17
	v_fmac_f32_e32 v37, 0xbf0a6770, v6
	v_fmamk_f32 v104, v2, 0x3ed4b147, v38
	v_fmamk_f32 v105, v6, 0x3f68dda4, v39
	v_fma_f32 v38, 0x3ed4b147, v2, -v38
	v_fmac_f32_e32 v39, 0xbf68dda4, v6
	;; [unrolled: 4-line block ×4, first 2 shown]
	v_fmamk_f32 v110, v2, 0xbf75a155, v7
	v_fma_f32 v2, 0xbf75a155, v2, -v7
	v_add_f32_e32 v0, v0, v68
	v_add_f32_e32 v1, v1, v13
	v_fmamk_f32 v111, v6, 0x3e903f40, v3
	v_fmac_f32_e32 v3, 0xbe903f40, v6
	v_fmamk_f32 v6, v10, 0x3ed4b147, v62
	v_fmamk_f32 v7, v14, 0x3f68dda4, v63
	v_fma_f32 v62, 0x3ed4b147, v10, -v62
	v_fmac_f32_e32 v63, 0xbf68dda4, v14
	v_fmamk_f32 v112, v10, 0xbf27a4f4, v64
	v_fmamk_f32 v113, v14, 0x3f4178ce, v73
	v_fma_f32 v64, 0xbf27a4f4, v10, -v64
	;; [unrolled: 4-line block ×16, first 2 shown]
	v_fmac_f32_e32 v97, 0xbe903f40, v35
	v_fmamk_f32 v136, v33, 0x3f575c64, v98
	v_fma_f32 v98, 0x3f575c64, v33, -v98
	v_fmamk_f32 v137, v33, 0xbf27a4f4, v100
	v_fma_f32 v100, 0xbf27a4f4, v33, -v100
	;; [unrolled: 2-line block ×4, first 2 shown]
	v_fmamk_f32 v36, v35, 0xbf0a6770, v99
	v_fmac_f32_e32 v99, 0x3f0a6770, v35
	v_fmamk_f32 v140, v35, 0x3f4178ce, v101
	v_fmac_f32_e32 v101, 0xbf4178ce, v35
	;; [unrolled: 2-line block ×4, first 2 shown]
	v_add_f32_e32 v12, v24, v12
	v_add_f32_e32 v17, v24, v17
	;; [unrolled: 1-line block ×108, first 2 shown]
	global_store_dwordx2 v[44:45], v[0:1], off
	v_add_f32_e32 v0, v24, v75
	v_add_f32_e32 v1, v26, v25
	global_store_dwordx2 v[46:47], v[4:5], off
	global_store_dwordx2 v[48:49], v[8:9], off
	;; [unrolled: 1-line block ×5, first 2 shown]
	v_lshlrev_b64 v[0:1], 3, v[20:21]
	v_add_co_u32 v4, vcc_lo, v66, v60
	v_add_f32_e32 v18, v33, v29
	v_add_f32_e32 v19, v34, v30
	v_add_co_ci_u32_e32 v5, vcc_lo, v67, v61, vcc_lo
	v_add_co_u32 v0, vcc_lo, v66, v0
	v_add_co_ci_u32_e32 v1, vcc_lo, v67, v1, vcc_lo
	global_store_dwordx2 v[54:55], v[18:19], off
	global_store_dwordx2 v[56:57], v[14:15], off
	global_store_dwordx2 v[58:59], v[10:11], off
	global_store_dwordx2 v[4:5], v[6:7], off
	global_store_dwordx2 v[0:1], v[2:3], off
.LBB0_34:
	s_endpgm
	.section	.rodata,"a",@progbits
	.p2align	6, 0x0
	.amdhsa_kernel fft_rtc_back_len924_factors_2_2_3_7_11_wgs_44_tpt_44_halfLds_sp_op_CI_CI_unitstride_sbrr_dirReg
		.amdhsa_group_segment_fixed_size 0
		.amdhsa_private_segment_fixed_size 0
		.amdhsa_kernarg_size 104
		.amdhsa_user_sgpr_count 6
		.amdhsa_user_sgpr_private_segment_buffer 1
		.amdhsa_user_sgpr_dispatch_ptr 0
		.amdhsa_user_sgpr_queue_ptr 0
		.amdhsa_user_sgpr_kernarg_segment_ptr 1
		.amdhsa_user_sgpr_dispatch_id 0
		.amdhsa_user_sgpr_flat_scratch_init 0
		.amdhsa_user_sgpr_private_segment_size 0
		.amdhsa_wavefront_size32 1
		.amdhsa_uses_dynamic_stack 0
		.amdhsa_system_sgpr_private_segment_wavefront_offset 0
		.amdhsa_system_sgpr_workgroup_id_x 1
		.amdhsa_system_sgpr_workgroup_id_y 0
		.amdhsa_system_sgpr_workgroup_id_z 0
		.amdhsa_system_sgpr_workgroup_info 0
		.amdhsa_system_vgpr_workitem_id 0
		.amdhsa_next_free_vgpr 154
		.amdhsa_next_free_sgpr 27
		.amdhsa_reserve_vcc 1
		.amdhsa_reserve_flat_scratch 0
		.amdhsa_float_round_mode_32 0
		.amdhsa_float_round_mode_16_64 0
		.amdhsa_float_denorm_mode_32 3
		.amdhsa_float_denorm_mode_16_64 3
		.amdhsa_dx10_clamp 1
		.amdhsa_ieee_mode 1
		.amdhsa_fp16_overflow 0
		.amdhsa_workgroup_processor_mode 1
		.amdhsa_memory_ordered 1
		.amdhsa_forward_progress 0
		.amdhsa_shared_vgpr_count 0
		.amdhsa_exception_fp_ieee_invalid_op 0
		.amdhsa_exception_fp_denorm_src 0
		.amdhsa_exception_fp_ieee_div_zero 0
		.amdhsa_exception_fp_ieee_overflow 0
		.amdhsa_exception_fp_ieee_underflow 0
		.amdhsa_exception_fp_ieee_inexact 0
		.amdhsa_exception_int_div_zero 0
	.end_amdhsa_kernel
	.text
.Lfunc_end0:
	.size	fft_rtc_back_len924_factors_2_2_3_7_11_wgs_44_tpt_44_halfLds_sp_op_CI_CI_unitstride_sbrr_dirReg, .Lfunc_end0-fft_rtc_back_len924_factors_2_2_3_7_11_wgs_44_tpt_44_halfLds_sp_op_CI_CI_unitstride_sbrr_dirReg
                                        ; -- End function
	.section	.AMDGPU.csdata,"",@progbits
; Kernel info:
; codeLenInByte = 13000
; NumSgprs: 29
; NumVgprs: 154
; ScratchSize: 0
; MemoryBound: 0
; FloatMode: 240
; IeeeMode: 1
; LDSByteSize: 0 bytes/workgroup (compile time only)
; SGPRBlocks: 3
; VGPRBlocks: 19
; NumSGPRsForWavesPerEU: 29
; NumVGPRsForWavesPerEU: 154
; Occupancy: 6
; WaveLimiterHint : 1
; COMPUTE_PGM_RSRC2:SCRATCH_EN: 0
; COMPUTE_PGM_RSRC2:USER_SGPR: 6
; COMPUTE_PGM_RSRC2:TRAP_HANDLER: 0
; COMPUTE_PGM_RSRC2:TGID_X_EN: 1
; COMPUTE_PGM_RSRC2:TGID_Y_EN: 0
; COMPUTE_PGM_RSRC2:TGID_Z_EN: 0
; COMPUTE_PGM_RSRC2:TIDIG_COMP_CNT: 0
	.text
	.p2alignl 6, 3214868480
	.fill 48, 4, 3214868480
	.type	__hip_cuid_22d67df309eddc58,@object ; @__hip_cuid_22d67df309eddc58
	.section	.bss,"aw",@nobits
	.globl	__hip_cuid_22d67df309eddc58
__hip_cuid_22d67df309eddc58:
	.byte	0                               ; 0x0
	.size	__hip_cuid_22d67df309eddc58, 1

	.ident	"AMD clang version 19.0.0git (https://github.com/RadeonOpenCompute/llvm-project roc-6.4.0 25133 c7fe45cf4b819c5991fe208aaa96edf142730f1d)"
	.section	".note.GNU-stack","",@progbits
	.addrsig
	.addrsig_sym __hip_cuid_22d67df309eddc58
	.amdgpu_metadata
---
amdhsa.kernels:
  - .args:
      - .actual_access:  read_only
        .address_space:  global
        .offset:         0
        .size:           8
        .value_kind:     global_buffer
      - .offset:         8
        .size:           8
        .value_kind:     by_value
      - .actual_access:  read_only
        .address_space:  global
        .offset:         16
        .size:           8
        .value_kind:     global_buffer
      - .actual_access:  read_only
        .address_space:  global
        .offset:         24
        .size:           8
        .value_kind:     global_buffer
      - .actual_access:  read_only
        .address_space:  global
        .offset:         32
        .size:           8
        .value_kind:     global_buffer
      - .offset:         40
        .size:           8
        .value_kind:     by_value
      - .actual_access:  read_only
        .address_space:  global
        .offset:         48
        .size:           8
        .value_kind:     global_buffer
      - .actual_access:  read_only
        .address_space:  global
        .offset:         56
        .size:           8
        .value_kind:     global_buffer
      - .offset:         64
        .size:           4
        .value_kind:     by_value
      - .actual_access:  read_only
        .address_space:  global
        .offset:         72
        .size:           8
        .value_kind:     global_buffer
      - .actual_access:  read_only
        .address_space:  global
        .offset:         80
        .size:           8
        .value_kind:     global_buffer
      - .actual_access:  read_only
        .address_space:  global
        .offset:         88
        .size:           8
        .value_kind:     global_buffer
      - .actual_access:  write_only
        .address_space:  global
        .offset:         96
        .size:           8
        .value_kind:     global_buffer
    .group_segment_fixed_size: 0
    .kernarg_segment_align: 8
    .kernarg_segment_size: 104
    .language:       OpenCL C
    .language_version:
      - 2
      - 0
    .max_flat_workgroup_size: 44
    .name:           fft_rtc_back_len924_factors_2_2_3_7_11_wgs_44_tpt_44_halfLds_sp_op_CI_CI_unitstride_sbrr_dirReg
    .private_segment_fixed_size: 0
    .sgpr_count:     29
    .sgpr_spill_count: 0
    .symbol:         fft_rtc_back_len924_factors_2_2_3_7_11_wgs_44_tpt_44_halfLds_sp_op_CI_CI_unitstride_sbrr_dirReg.kd
    .uniform_work_group_size: 1
    .uses_dynamic_stack: false
    .vgpr_count:     154
    .vgpr_spill_count: 0
    .wavefront_size: 32
    .workgroup_processor_mode: 1
amdhsa.target:   amdgcn-amd-amdhsa--gfx1030
amdhsa.version:
  - 1
  - 2
...

	.end_amdgpu_metadata
